;; amdgpu-corpus repo=ROCm/rocFFT kind=compiled arch=gfx906 opt=O3
	.text
	.amdgcn_target "amdgcn-amd-amdhsa--gfx906"
	.amdhsa_code_object_version 6
	.protected	fft_rtc_back_len17_factors_17_wgs_120_tpt_1_dp_op_CI_CI_sbrc_unaligned_dirReg ; -- Begin function fft_rtc_back_len17_factors_17_wgs_120_tpt_1_dp_op_CI_CI_sbrc_unaligned_dirReg
	.globl	fft_rtc_back_len17_factors_17_wgs_120_tpt_1_dp_op_CI_CI_sbrc_unaligned_dirReg
	.p2align	8
	.type	fft_rtc_back_len17_factors_17_wgs_120_tpt_1_dp_op_CI_CI_sbrc_unaligned_dirReg,@function
fft_rtc_back_len17_factors_17_wgs_120_tpt_1_dp_op_CI_CI_sbrc_unaligned_dirReg: ; @fft_rtc_back_len17_factors_17_wgs_120_tpt_1_dp_op_CI_CI_sbrc_unaligned_dirReg
; %bb.0:
	s_load_dwordx8 s[8:15], s[4:5], 0x8
	s_load_dwordx4 s[20:23], s[4:5], 0x58
	s_mov_b32 s28, 0
	s_mov_b64 s[30:31], 2
	s_mov_b32 s7, s28
	s_waitcnt lgkmcnt(0)
	s_load_dword s33, s[10:11], 0x8
	s_load_dwordx4 s[16:19], s[14:15], 0x0
	s_load_dwordx4 s[24:27], s[12:13], 0x0
	s_waitcnt lgkmcnt(0)
	s_add_i32 s0, s33, -1
	s_mul_hi_u32 s0, s0, 0x88888889
	s_lshr_b32 s0, s0, 6
	s_add_i32 s38, s0, 1
	v_cvt_f32_u32_e32 v1, s38
	s_sub_i32 s2, 0, s38
	v_cmp_gt_u64_e64 s[0:1], s[8:9], 2
	v_rcp_iflag_f32_e32 v1, v1
	v_mul_f32_e32 v1, 0x4f7ffffe, v1
	v_cvt_u32_f32_e32 v1, v1
	v_readfirstlane_b32 s3, v1
	s_mul_i32 s2, s2, s3
	s_mul_hi_u32 s2, s3, s2
	s_add_i32 s3, s3, s2
	s_mul_hi_u32 s2, s6, s3
	s_mul_i32 s3, s2, s38
	s_sub_i32 s3, s6, s3
	s_add_i32 s4, s2, 1
	s_sub_i32 s5, s3, s38
	s_cmp_ge_u32 s3, s38
	s_cselect_b32 s2, s4, s2
	s_cselect_b32 s3, s5, s3
	s_add_i32 s4, s2, 1
	s_cmp_ge_u32 s3, s38
	s_cselect_b32 s19, s4, s2
	s_and_b64 vcc, exec, s[0:1]
	s_mul_i32 s0, s19, s38
	s_sub_i32 s27, s6, s0
	s_mulk_i32 s27, 0x78
	s_mul_i32 s0, s17, s27
	s_mul_hi_u32 s1, s16, s27
	s_mul_i32 s39, s27, s26
	s_mul_i32 s2, s16, s27
	s_add_i32 s3, s1, s0
	s_cbranch_vccz .LBB0_9
; %bb.1:
	v_mov_b32_e32 v1, s8
	s_mov_b32 s4, 3
	v_mov_b32_e32 v2, s9
.LBB0_2:                                ; =>This Inner Loop Header: Depth=1
	s_lshl_b64 s[30:31], s[30:31], 3
	s_add_u32 s0, s10, s30
	s_addc_u32 s1, s11, s31
	s_load_dwordx2 s[34:35], s[0:1], 0x0
	s_waitcnt lgkmcnt(0)
	s_mov_b32 s29, s35
	s_cmp_lg_u64 s[28:29], 0
	s_cbranch_scc0 .LBB0_7
; %bb.3:                                ;   in Loop: Header=BB0_2 Depth=1
	v_cvt_f32_u32_e32 v3, s34
	v_cvt_f32_u32_e32 v4, s35
	s_sub_u32 s0, 0, s34
	s_subb_u32 s1, 0, s35
	v_mac_f32_e32 v3, 0x4f800000, v4
	v_rcp_f32_e32 v3, v3
	v_mul_f32_e32 v3, 0x5f7ffffc, v3
	v_mul_f32_e32 v4, 0x2f800000, v3
	v_trunc_f32_e32 v4, v4
	v_mac_f32_e32 v3, 0xcf800000, v4
	v_cvt_u32_f32_e32 v4, v4
	v_cvt_u32_f32_e32 v3, v3
	v_readfirstlane_b32 s5, v4
	v_readfirstlane_b32 s29, v3
	s_mul_i32 s36, s0, s5
	s_mul_hi_u32 s40, s0, s29
	s_mul_i32 s37, s1, s29
	s_add_i32 s36, s40, s36
	s_mul_i32 s41, s0, s29
	s_add_i32 s36, s36, s37
	s_mul_hi_u32 s37, s29, s36
	s_mul_i32 s40, s29, s36
	s_mul_hi_u32 s29, s29, s41
	s_add_u32 s29, s29, s40
	s_addc_u32 s37, 0, s37
	s_mul_hi_u32 s42, s5, s41
	s_mul_i32 s41, s5, s41
	s_add_u32 s29, s29, s41
	s_mul_hi_u32 s40, s5, s36
	s_addc_u32 s29, s37, s42
	s_addc_u32 s37, s40, 0
	s_mul_i32 s36, s5, s36
	s_add_u32 s29, s29, s36
	s_addc_u32 s36, 0, s37
	v_add_co_u32_e32 v3, vcc, s29, v3
	s_cmp_lg_u64 vcc, 0
	s_addc_u32 s5, s5, s36
	v_readfirstlane_b32 s36, v3
	s_mul_i32 s29, s0, s5
	s_mul_hi_u32 s37, s0, s36
	s_add_i32 s29, s37, s29
	s_mul_i32 s1, s1, s36
	s_add_i32 s29, s29, s1
	s_mul_i32 s0, s0, s36
	s_mul_hi_u32 s37, s5, s0
	s_mul_i32 s40, s5, s0
	s_mul_i32 s42, s36, s29
	s_mul_hi_u32 s0, s36, s0
	s_mul_hi_u32 s41, s36, s29
	s_add_u32 s0, s0, s42
	s_addc_u32 s36, 0, s41
	s_add_u32 s0, s0, s40
	s_mul_hi_u32 s1, s5, s29
	s_addc_u32 s0, s36, s37
	s_addc_u32 s1, s1, 0
	s_mul_i32 s29, s5, s29
	s_add_u32 s0, s0, s29
	s_addc_u32 s1, 0, s1
	v_add_co_u32_e32 v3, vcc, s0, v3
	s_cmp_lg_u64 vcc, 0
	s_addc_u32 s0, s5, s1
	v_readfirstlane_b32 s5, v3
	s_mul_hi_u32 s1, s19, s0
	s_mul_i32 s0, s19, s0
	s_mul_hi_u32 s5, s19, s5
	s_add_u32 s0, s5, s0
	s_addc_u32 s5, 0, s1
	s_mul_i32 s0, s35, s5
	s_mul_hi_u32 s1, s34, s5
	s_add_i32 s29, s1, s0
	s_mul_i32 s1, s34, s5
	v_mov_b32_e32 v3, s1
	s_sub_i32 s0, 0, s29
	v_sub_co_u32_e32 v3, vcc, s19, v3
	s_cmp_lg_u64 vcc, 0
	s_subb_u32 s36, s0, s35
	v_subrev_co_u32_e64 v4, s[0:1], s34, v3
	s_cmp_lg_u64 s[0:1], 0
	s_subb_u32 s0, s36, 0
	s_cmp_ge_u32 s0, s35
	v_readfirstlane_b32 s36, v4
	s_cselect_b32 s1, -1, 0
	s_cmp_ge_u32 s36, s34
	s_cselect_b32 s36, -1, 0
	s_cmp_eq_u32 s0, s35
	s_cselect_b32 s0, s36, s1
	s_add_u32 s1, s5, 1
	s_addc_u32 s36, 0, 0
	s_add_u32 s37, s5, 2
	s_addc_u32 s40, 0, 0
	s_cmp_lg_u32 s0, 0
	s_cselect_b32 s0, s37, s1
	s_cselect_b32 s1, s40, s36
	s_cmp_lg_u64 vcc, 0
	s_subb_u32 s29, 0, s29
	s_cmp_ge_u32 s29, s35
	v_readfirstlane_b32 s37, v3
	s_cselect_b32 s36, -1, 0
	s_cmp_ge_u32 s37, s34
	s_cselect_b32 s37, -1, 0
	s_cmp_eq_u32 s29, s35
	s_cselect_b32 s29, s37, s36
	s_cmp_lg_u32 s29, 0
	s_cselect_b32 s1, s1, 0
	s_cselect_b32 s0, s0, s5
	s_cbranch_execnz .LBB0_5
.LBB0_4:                                ;   in Loop: Header=BB0_2 Depth=1
	v_cvt_f32_u32_e32 v3, s34
	s_sub_i32 s0, 0, s34
	v_rcp_iflag_f32_e32 v3, v3
	v_mul_f32_e32 v3, 0x4f7ffffe, v3
	v_cvt_u32_f32_e32 v3, v3
	v_readfirstlane_b32 s1, v3
	s_mul_i32 s0, s0, s1
	s_mul_hi_u32 s0, s1, s0
	s_add_i32 s1, s1, s0
	s_mul_hi_u32 s0, s19, s1
	s_mul_i32 s5, s0, s34
	s_sub_i32 s5, s19, s5
	s_add_i32 s1, s0, 1
	s_sub_i32 s29, s5, s34
	s_cmp_ge_u32 s5, s34
	s_cselect_b32 s0, s1, s0
	s_cselect_b32 s5, s29, s5
	s_add_i32 s1, s0, 1
	s_cmp_ge_u32 s5, s34
	s_cselect_b32 s0, s1, s0
	s_mov_b32 s1, s28
.LBB0_5:                                ;   in Loop: Header=BB0_2 Depth=1
	s_mul_i32 s5, s0, s35
	s_mul_hi_u32 s29, s0, s34
	s_add_i32 s5, s29, s5
	s_mul_i32 s1, s1, s34
	s_add_i32 s5, s5, s1
	s_mul_i32 s1, s0, s34
	s_sub_u32 s1, s19, s1
	s_subb_u32 s5, 0, s5
	s_add_u32 s36, s12, s30
	s_addc_u32 s37, s13, s31
	s_load_dwordx2 s[36:37], s[36:37], 0x0
	s_mul_i32 s38, s38, s34
	s_waitcnt lgkmcnt(0)
	s_mul_i32 s19, s36, s5
	s_mul_hi_u32 s29, s36, s1
	s_add_i32 s19, s29, s19
	s_mul_i32 s29, s37, s1
	s_add_i32 s19, s19, s29
	s_mul_i32 s29, s36, s1
	s_add_u32 s39, s29, s39
	s_addc_u32 s7, s19, s7
	s_add_u32 s30, s14, s30
	s_addc_u32 s31, s15, s31
	s_load_dwordx2 s[30:31], s[30:31], 0x0
	s_waitcnt lgkmcnt(0)
	s_mul_i32 s5, s30, s5
	s_mul_hi_u32 s19, s30, s1
	s_add_i32 s5, s19, s5
	s_mul_i32 s19, s31, s1
	s_add_i32 s5, s5, s19
	s_mul_i32 s1, s30, s1
	s_add_u32 s2, s1, s2
	s_addc_u32 s3, s5, s3
	s_mov_b32 s5, s28
	v_cmp_ge_u64_e32 vcc, s[4:5], v[1:2]
	s_mov_b64 s[30:31], s[4:5]
	s_add_i32 s4, s4, 1
	s_cbranch_vccnz .LBB0_8
; %bb.6:                                ;   in Loop: Header=BB0_2 Depth=1
	s_mov_b32 s19, s0
	s_branch .LBB0_2
.LBB0_7:                                ;   in Loop: Header=BB0_2 Depth=1
                                        ; implicit-def: $sgpr0_sgpr1
	s_branch .LBB0_4
.LBB0_8:
	v_cvt_f32_u32_e32 v1, s38
	s_sub_i32 s0, 0, s38
	v_rcp_iflag_f32_e32 v1, v1
	v_mul_f32_e32 v1, 0x4f7ffffe, v1
	v_cvt_u32_f32_e32 v1, v1
	v_readfirstlane_b32 s1, v1
	s_mul_i32 s0, s0, s1
	s_mul_hi_u32 s0, s1, s0
	s_add_i32 s1, s1, s0
	s_mul_hi_u32 s0, s6, s1
	s_mul_i32 s1, s0, s38
	s_sub_i32 s1, s6, s1
	s_add_i32 s4, s0, 1
	s_sub_i32 s5, s1, s38
	s_cmp_ge_u32 s1, s38
	s_cselect_b32 s0, s4, s0
	s_cselect_b32 s1, s5, s1
	s_add_i32 s4, s0, 1
	s_cmp_ge_u32 s1, s38
	s_cselect_b32 s19, s4, s0
.LBB0_9:
	s_lshl_b64 s[0:1], s[8:9], 3
	s_add_u32 s4, s12, s0
	s_addc_u32 s5, s13, s1
	s_load_dwordx2 s[4:5], s[4:5], 0x0
	s_movk_i32 s10, 0x78
	s_mov_b64 s[8:9], -1
	s_waitcnt lgkmcnt(0)
	s_mul_i32 s5, s5, s19
	s_mul_hi_u32 s6, s4, s19
	s_mul_i32 s4, s4, s19
	s_add_i32 s5, s6, s5
	s_add_u32 s6, s4, s39
	s_addc_u32 s7, s5, s7
	s_add_u32 s0, s14, s0
	s_addc_u32 s1, s15, s1
	s_load_dwordx2 s[0:1], s[0:1], 0x0
	s_add_i32 s4, s27, 0x78
	s_cmp_le_u32 s4, s33
	s_cselect_b64 s[4:5], -1, 0
	s_and_b64 vcc, exec, s[4:5]
	s_cbranch_vccnz .LBB0_13
; %bb.10:
	s_lshl_b64 s[8:9], s[6:7], 4
	s_add_u32 s11, s20, s8
	s_addc_u32 s13, s21, s9
	s_mov_b64 s[8:9], 0
	s_mov_b32 s12, 0xf0f1
	v_mov_b32_e32 v2, 0
	v_mov_b32_e32 v3, s13
	s_movk_i32 s13, 0x7f7
	v_mov_b32_e32 v4, v0
.LBB0_11:                               ; =>This Inner Loop Header: Depth=1
	v_mul_u32_u24_sdwa v1, v4, s12 dst_sel:DWORD dst_unused:UNUSED_PAD src0_sel:WORD_0 src1_sel:DWORD
	v_lshrrev_b32_e32 v11, 20, v1
	v_mul_lo_u16_e32 v5, 17, v11
	v_sub_u16_e32 v12, v4, v5
	v_mul_lo_u32 v1, s26, v11
	v_mad_u64_u32 v[5:6], s[14:15], s24, v12, 0
	v_add_u32_e32 v4, 0x78, v4
	v_lshlrev_b64 v[7:8], 4, v[1:2]
	v_mov_b32_e32 v1, v6
	v_mad_u64_u32 v[9:10], s[14:15], s25, v12, v[1:2]
	v_mov_b32_e32 v6, v9
	v_lshlrev_b64 v[5:6], 4, v[5:6]
	v_add_co_u32_e32 v1, vcc, s11, v5
	v_addc_co_u32_e32 v6, vcc, v3, v6, vcc
	v_add_co_u32_e32 v5, vcc, v1, v7
	v_addc_co_u32_e32 v6, vcc, v6, v8, vcc
	global_load_dwordx4 v[5:8], v[5:6], off
	v_mad_legacy_u16 v1, v12, s10, v11
	v_cmp_lt_u32_e32 vcc, s13, v4
	v_lshl_add_u32 v1, v1, 4, 0
	s_or_b64 s[8:9], vcc, s[8:9]
	s_waitcnt vmcnt(0)
	ds_write_b128 v1, v[5:8]
	s_andn2_b64 exec, exec, s[8:9]
	s_cbranch_execnz .LBB0_11
; %bb.12:
	s_or_b64 exec, exec, s[8:9]
	s_mov_b64 s[8:9], 0
.LBB0_13:
	s_and_b64 vcc, exec, s[8:9]
	s_cbranch_vccz .LBB0_15
; %bb.14:
	s_movk_i32 s8, 0xf10
	v_mul_u32_u24_sdwa v1, v0, s8 dst_sel:DWORD dst_unused:UNUSED_PAD src0_sel:WORD_0 src1_sel:DWORD
	v_lshrrev_b32_e32 v3, 16, v1
	v_mul_lo_u16_e32 v1, 17, v3
	v_sub_u16_e32 v4, v0, v1
	v_mad_u64_u32 v[5:6], s[10:11], s24, v4, 0
	v_mov_b32_e32 v2, 0
	s_lshl_b64 s[6:7], s[6:7], 4
	v_mov_b32_e32 v1, v6
	v_mad_u64_u32 v[6:7], s[10:11], s25, v4, v[1:2]
	v_mul_lo_u32 v1, s26, v3
	s_add_u32 s6, s20, s6
	v_lshlrev_b64 v[5:6], 4, v[5:6]
	s_addc_u32 s7, s21, s7
	v_mov_b32_e32 v7, s7
	v_add_co_u32_e32 v8, vcc, s6, v5
	v_addc_co_u32_e32 v7, vcc, v7, v6, vcc
	v_lshlrev_b64 v[5:6], 4, v[1:2]
	v_add_u16_e32 v1, 0x78, v0
	v_add_co_u32_e32 v19, vcc, v8, v5
	v_add_u16_e32 v8, 0xf0, v0
	v_addc_co_u32_e32 v20, vcc, v7, v6, vcc
	v_add_u16_e32 v11, 0x168, v0
	v_mul_u32_u24_e32 v5, 0xf10, v1
	v_mul_u32_u24_e32 v6, 0xf10, v8
	;; [unrolled: 1-line block ×3, first 2 shown]
	v_lshrrev_b32_e32 v7, 16, v5
	v_lshrrev_b32_e32 v6, 16, v6
	;; [unrolled: 1-line block ×3, first 2 shown]
	v_mul_lo_u16_e32 v9, 17, v7
	v_mul_lo_u16_e32 v12, 17, v6
	;; [unrolled: 1-line block ×3, first 2 shown]
	v_sub_u16_e32 v10, v1, v9
	v_sub_u16_e32 v9, v8, v12
	;; [unrolled: 1-line block ×3, first 2 shown]
	v_mad_u64_u32 v[11:12], s[10:11], s24, v10, 0
	v_mad_u64_u32 v[13:14], s[10:11], s24, v9, 0
	;; [unrolled: 1-line block ×4, first 2 shown]
	v_mov_b32_e32 v12, v14
	v_mad_u64_u32 v[21:22], s[10:11], s25, v9, v[12:13]
	v_mov_b32_e32 v12, v17
	v_mul_lo_u32 v1, s26, v7
	v_mov_b32_e32 v14, v16
	v_lshlrev_b64 v[11:12], 4, v[11:12]
	v_mad_u64_u32 v[16:17], s[10:11], s25, v8, v[14:15]
	v_mov_b32_e32 v14, v21
	v_mov_b32_e32 v25, s7
	v_lshlrev_b64 v[13:14], 4, v[13:14]
	v_add_co_u32_e32 v11, vcc, s6, v11
	v_addc_co_u32_e32 v12, vcc, v25, v12, vcc
	v_mov_b32_e32 v26, s7
	v_lshlrev_b64 v[17:18], 4, v[1:2]
	v_add_co_u32_e32 v29, vcc, s6, v13
	v_addc_co_u32_e32 v30, vcc, v26, v14, vcc
	v_add_co_u32_e32 v25, vcc, v11, v17
	v_lshlrev_b64 v[23:24], 4, v[15:16]
	v_addc_co_u32_e32 v26, vcc, v12, v18, vcc
	global_load_dwordx4 v[11:14], v[19:20], off
	global_load_dwordx4 v[15:18], v[25:26], off
	v_add_u16_e32 v19, 0x1e0, v0
	v_mul_lo_u32 v1, s26, v6
	v_mul_u32_u24_e32 v20, 0xf10, v19
	v_lshrrev_b32_e32 v81, 16, v20
	v_mul_lo_u16_e32 v20, 17, v81
	v_mov_b32_e32 v27, s7
	v_add_co_u32_e32 v23, vcc, s6, v23
	v_sub_u16_e32 v82, v19, v20
	v_lshlrev_b64 v[21:22], 4, v[1:2]
	v_mul_lo_u32 v1, s26, v5
	v_addc_co_u32_e32 v24, vcc, v27, v24, vcc
	v_mad_u64_u32 v[27:28], s[10:11], s24, v82, 0
	v_add_co_u32_e32 v29, vcc, v29, v21
	v_lshlrev_b64 v[19:20], 4, v[1:2]
	v_mov_b32_e32 v1, v28
	v_addc_co_u32_e32 v30, vcc, v30, v22, vcc
	v_mad_u64_u32 v[31:32], s[10:11], s25, v82, v[1:2]
	v_add_co_u32_e32 v32, vcc, v23, v19
	v_addc_co_u32_e32 v33, vcc, v24, v20, vcc
	global_load_dwordx4 v[19:22], v[29:30], off
	global_load_dwordx4 v[23:26], v[32:33], off
	v_add_u16_e32 v29, 0x258, v0
	v_mul_u32_u24_e32 v30, 0xf10, v29
	v_lshrrev_b32_e32 v83, 16, v30
	v_mul_lo_u16_e32 v30, 17, v83
	v_sub_u16_e32 v84, v29, v30
	v_mov_b32_e32 v28, v31
	v_mul_lo_u32 v1, s26, v81
	v_mad_u64_u32 v[29:30], s[10:11], s24, v84, 0
	v_lshlrev_b64 v[27:28], 4, v[27:28]
	v_mov_b32_e32 v31, s7
	v_add_co_u32_e32 v32, vcc, s6, v27
	v_addc_co_u32_e32 v33, vcc, v31, v28, vcc
	v_lshlrev_b64 v[27:28], 4, v[1:2]
	v_mov_b32_e32 v1, v30
	v_mad_u64_u32 v[30:31], s[10:11], s25, v84, v[1:2]
	v_add_co_u32_e32 v35, vcc, v32, v27
	v_addc_co_u32_e32 v36, vcc, v33, v28, vcc
	v_lshlrev_b64 v[27:28], 4, v[29:30]
	v_add_u16_e32 v30, 0x2d0, v0
	v_mul_u32_u24_e32 v31, 0xf10, v30
	v_lshrrev_b32_e32 v85, 16, v31
	v_mul_lo_u16_e32 v31, 17, v85
	v_sub_u16_e32 v86, v30, v31
	v_mul_lo_u32 v1, s26, v83
	v_mad_u64_u32 v[37:38], s[10:11], s24, v86, 0
	v_mov_b32_e32 v29, s7
	v_add_co_u32_e32 v30, vcc, s6, v27
	v_addc_co_u32_e32 v29, vcc, v29, v28, vcc
	v_lshlrev_b64 v[27:28], 4, v[1:2]
	v_mov_b32_e32 v1, v38
	v_mad_u64_u32 v[38:39], s[10:11], s25, v86, v[1:2]
	v_add_co_u32_e32 v39, vcc, v30, v27
	v_addc_co_u32_e32 v40, vcc, v29, v28, vcc
	global_load_dwordx4 v[27:30], v[35:36], off
	global_load_dwordx4 v[31:34], v[39:40], off
	v_lshlrev_b64 v[35:36], 4, v[37:38]
	v_add_u16_e32 v37, 0x348, v0
	v_mul_u32_u24_e32 v38, 0xf10, v37
	v_lshrrev_b32_e32 v87, 16, v38
	v_mul_lo_u16_e32 v38, 17, v87
	v_sub_u16_e32 v88, v37, v38
	v_mul_lo_u32 v1, s26, v85
	v_mad_u64_u32 v[37:38], s[10:11], s24, v88, 0
	v_mov_b32_e32 v39, s7
	v_add_co_u32_e32 v40, vcc, s6, v35
	v_addc_co_u32_e32 v41, vcc, v39, v36, vcc
	v_lshlrev_b64 v[35:36], 4, v[1:2]
	v_mov_b32_e32 v1, v38
	v_mad_u64_u32 v[38:39], s[10:11], s25, v88, v[1:2]
	v_add_co_u32_e32 v43, vcc, v40, v35
	v_addc_co_u32_e32 v44, vcc, v41, v36, vcc
	v_lshlrev_b64 v[35:36], 4, v[37:38]
	v_add_u16_e32 v38, 0x3c0, v0
	v_mul_u32_u24_e32 v39, 0xf10, v38
	v_lshrrev_b32_e32 v89, 16, v39
	v_mul_lo_u16_e32 v39, 17, v89
	v_sub_u16_e32 v90, v38, v39
	v_mul_lo_u32 v1, s26, v87
	v_mad_u64_u32 v[45:46], s[10:11], s24, v90, 0
	v_mov_b32_e32 v37, s7
	v_add_co_u32_e32 v38, vcc, s6, v35
	v_addc_co_u32_e32 v37, vcc, v37, v36, vcc
	v_lshlrev_b64 v[35:36], 4, v[1:2]
	v_mov_b32_e32 v1, v46
	v_mad_u64_u32 v[46:47], s[10:11], s25, v90, v[1:2]
	v_add_co_u32_e32 v47, vcc, v38, v35
	v_addc_co_u32_e32 v48, vcc, v37, v36, vcc
	global_load_dwordx4 v[35:38], v[43:44], off
	global_load_dwordx4 v[39:42], v[47:48], off
	v_lshlrev_b64 v[43:44], 4, v[45:46]
	v_add_u16_e32 v45, 0x438, v0
	v_mul_u32_u24_e32 v46, 0xf10, v45
	v_lshrrev_b32_e32 v91, 16, v46
	v_mul_lo_u16_e32 v46, 17, v91
	v_sub_u16_e32 v92, v45, v46
	v_mul_lo_u32 v1, s26, v89
	v_mad_u64_u32 v[45:46], s[10:11], s24, v92, 0
	;; [unrolled: 34-line block ×5, first 2 shown]
	v_mov_b32_e32 v71, s7
	v_add_co_u32_e32 v72, vcc, s6, v67
	v_addc_co_u32_e32 v73, vcc, v71, v68, vcc
	v_lshlrev_b64 v[67:68], 4, v[1:2]
	v_mov_b32_e32 v1, v70
	v_mad_u64_u32 v[70:71], s[10:11], s25, v104, v[1:2]
	v_add_co_u32_e32 v75, vcc, v72, v67
	v_addc_co_u32_e32 v76, vcc, v73, v68, vcc
	v_lshlrev_b64 v[67:68], 4, v[69:70]
	v_or_b32_e32 v70, 0x780, v0
	v_mul_u32_u24_sdwa v71, v70, s8 dst_sel:DWORD dst_unused:UNUSED_PAD src0_sel:WORD_0 src1_sel:DWORD
	v_lshrrev_b32_e32 v105, 16, v71
	v_mul_lo_u16_e32 v71, 17, v105
	v_sub_u16_e32 v106, v70, v71
	v_mul_lo_u32 v1, s26, v103
	v_mad_u64_u32 v[77:78], s[8:9], s24, v106, 0
	v_mov_b32_e32 v69, s7
	v_add_co_u32_e32 v70, vcc, s6, v67
	v_addc_co_u32_e32 v69, vcc, v69, v68, vcc
	v_lshlrev_b64 v[67:68], 4, v[1:2]
	v_mov_b32_e32 v1, v78
	v_mad_u64_u32 v[78:79], s[8:9], s25, v106, v[1:2]
	v_mul_lo_u32 v1, s26, v105
	v_add_co_u32_e32 v79, vcc, v70, v67
	v_addc_co_u32_e32 v80, vcc, v69, v68, vcc
	global_load_dwordx4 v[67:70], v[75:76], off
	global_load_dwordx4 v[71:74], v[79:80], off
	v_lshlrev_b64 v[75:76], 4, v[77:78]
	v_mov_b32_e32 v77, s7
	v_add_co_u32_e32 v75, vcc, s6, v75
	v_lshlrev_b64 v[1:2], 4, v[1:2]
	v_addc_co_u32_e32 v76, vcc, v77, v76, vcc
	v_add_co_u32_e32 v1, vcc, v75, v1
	v_addc_co_u32_e32 v2, vcc, v76, v2, vcc
	global_load_dwordx4 v[75:78], v[1:2], off
	v_mul_lo_u16_e32 v1, 0x78, v4
	v_or_b32_e32 v1, v1, v3
	v_and_b32_e32 v1, 0xffff, v1
	v_lshl_add_u32 v1, v1, 4, 0
	s_movk_i32 s6, 0x78
	s_waitcnt vmcnt(16)
	ds_write_b128 v1, v[11:14]
	v_mad_legacy_u16 v1, v10, s6, v7
	v_lshl_add_u32 v1, v1, 4, 0
	s_waitcnt vmcnt(15)
	ds_write_b128 v1, v[15:18]
	v_mad_legacy_u16 v1, v9, s6, v6
	v_lshl_add_u32 v1, v1, 4, 0
	s_waitcnt vmcnt(14)
	ds_write_b128 v1, v[19:22]
	v_mad_legacy_u16 v1, v8, s6, v5
	v_lshl_add_u32 v1, v1, 4, 0
	s_waitcnt vmcnt(13)
	ds_write_b128 v1, v[23:26]
	v_mad_legacy_u16 v1, v82, s6, v81
	v_lshl_add_u32 v1, v1, 4, 0
	s_waitcnt vmcnt(12)
	ds_write_b128 v1, v[27:30]
	v_mad_legacy_u16 v1, v84, s6, v83
	v_lshl_add_u32 v1, v1, 4, 0
	s_waitcnt vmcnt(11)
	ds_write_b128 v1, v[31:34]
	v_mad_legacy_u16 v1, v86, s6, v85
	v_lshl_add_u32 v1, v1, 4, 0
	s_waitcnt vmcnt(10)
	ds_write_b128 v1, v[35:38]
	v_mad_legacy_u16 v1, v88, s6, v87
	v_lshl_add_u32 v1, v1, 4, 0
	s_waitcnt vmcnt(9)
	ds_write_b128 v1, v[39:42]
	v_mad_legacy_u16 v1, v90, s6, v89
	v_lshl_add_u32 v1, v1, 4, 0
	s_waitcnt vmcnt(8)
	ds_write_b128 v1, v[43:46]
	v_mad_legacy_u16 v1, v92, s6, v91
	v_lshl_add_u32 v1, v1, 4, 0
	s_waitcnt vmcnt(7)
	ds_write_b128 v1, v[47:50]
	v_mad_legacy_u16 v1, v94, s6, v93
	v_lshl_add_u32 v1, v1, 4, 0
	s_waitcnt vmcnt(6)
	ds_write_b128 v1, v[51:54]
	v_mad_legacy_u16 v1, v96, s6, v95
	v_lshl_add_u32 v1, v1, 4, 0
	s_waitcnt vmcnt(5)
	ds_write_b128 v1, v[55:58]
	v_mad_legacy_u16 v1, v98, s6, v97
	v_lshl_add_u32 v1, v1, 4, 0
	s_waitcnt vmcnt(4)
	ds_write_b128 v1, v[59:62]
	v_mad_legacy_u16 v1, v100, s6, v99
	v_lshl_add_u32 v1, v1, 4, 0
	s_waitcnt vmcnt(3)
	ds_write_b128 v1, v[63:66]
	v_mad_legacy_u16 v1, v102, s6, v101
	v_lshl_add_u32 v1, v1, 4, 0
	s_waitcnt vmcnt(2)
	ds_write_b128 v1, v[67:70]
	v_mad_legacy_u16 v1, v104, s6, v103
	v_lshl_add_u32 v1, v1, 4, 0
	s_waitcnt vmcnt(1)
	ds_write_b128 v1, v[71:74]
	v_mad_legacy_u16 v1, v106, s6, v105
	v_lshl_add_u32 v1, v1, 4, 0
	s_waitcnt vmcnt(0)
	ds_write_b128 v1, v[75:78]
.LBB0_15:
	s_movk_i32 s6, 0x223
	v_mul_u32_u24_sdwa v1, v0, s6 dst_sel:DWORD dst_unused:UNUSED_PAD src0_sel:WORD_0 src1_sel:DWORD
	s_movk_i32 s6, 0x78
	v_mul_lo_u16_sdwa v1, v1, s6 dst_sel:DWORD dst_unused:UNUSED_PAD src0_sel:WORD_1 src1_sel:DWORD
	v_sub_u16_e32 v186, v0, v1
	v_add_u32_e32 v1, s27, v186
	v_cmp_gt_u32_e32 vcc, s33, v1
	s_or_b64 s[4:5], s[4:5], vcc
	s_waitcnt lgkmcnt(0)
	s_barrier
	s_and_saveexec_b64 s[6:7], s[4:5]
	s_cbranch_execz .LBB0_17
; %bb.16:
	s_mov_b32 s4, 0x2222223
	v_mul_hi_u32 v187, v0, s4
	v_lshlrev_b32_e32 v0, 4, v186
	s_mov_b32 s6, 0xacd6c6b4
	s_mov_b32 s7, 0xbfc7851a
	v_mul_u32_u24_e32 v1, 0x780, v187
	v_add3_u32 v140, 0, v1, v0
	ds_read_b128 v[36:39], v140 offset:13440
	ds_read_b128 v[48:51], v140 offset:11520
	;; [unrolled: 1-line block ×11, first 2 shown]
	ds_read_b128 v[44:47], v140
	ds_read_b128 v[72:75], v140 offset:3840
	ds_read_b128 v[68:71], v140 offset:5760
	;; [unrolled: 1-line block ×3, first 2 shown]
	s_mov_b32 s30, 0x5d8e7cdc
	s_waitcnt lgkmcnt(9)
	v_add_f64 v[114:115], v[76:77], -v[20:21]
	v_add_f64 v[98:99], v[78:79], v[22:23]
	s_waitcnt lgkmcnt(2)
	v_add_f64 v[106:107], v[72:73], -v[24:25]
	s_mov_b32 s4, 0x7faef3
	s_mov_b32 s31, 0x3fd71e95
	;; [unrolled: 1-line block ×3, first 2 shown]
	s_waitcnt lgkmcnt(0)
	v_add_f64 v[104:105], v[68:69], -v[32:33]
	v_add_f64 v[94:95], v[74:75], v[26:27]
	v_mul_f64 v[0:1], v[114:115], s[6:7]
	v_add_f64 v[144:145], v[78:79], -v[22:23]
	v_mul_f64 v[2:3], v[106:107], s[30:31]
	s_mov_b32 s8, 0x4363dd80
	s_mov_b32 s12, 0x370991
	;; [unrolled: 1-line block ×4, first 2 shown]
	v_mul_f64 v[6:7], v[104:105], s[8:9]
	v_fma_f64 v[4:5], v[98:99], s[4:5], v[0:1]
	v_add_f64 v[92:93], v[70:71], v[34:35]
	v_fma_f64 v[16:17], v[94:95], s[12:13], v[2:3]
	v_add_f64 v[128:129], v[76:77], v[20:21]
	v_mul_f64 v[80:81], v[144:145], s[6:7]
	v_add_f64 v[138:139], v[74:75], -v[26:27]
	s_mov_b32 s10, 0x910ea3b9
	s_mov_b32 s11, 0xbfeb34fa
	v_add_f64 v[4:5], v[46:47], v[4:5]
	v_add_f64 v[100:101], v[64:65], -v[28:29]
	v_fma_f64 v[52:53], v[92:93], s[10:11], v[6:7]
	v_add_f64 v[122:123], v[72:73], v[24:25]
	v_fma_f64 v[54:55], v[128:129], s[4:5], -v[80:81]
	v_mul_f64 v[82:83], v[138:139], s[30:31]
	v_add_f64 v[142:143], v[70:71], -v[34:35]
	s_mov_b32 s44, 0x2a9d6da3
	v_add_f64 v[4:5], v[16:17], v[4:5]
	s_mov_b32 s45, 0x3fe58eea
	v_add_f64 v[96:97], v[60:61], -v[40:41]
	v_mul_f64 v[18:19], v[100:101], s[44:45]
	v_add_f64 v[102:103], v[66:67], v[30:31]
	v_add_f64 v[118:119], v[68:69], v[32:33]
	v_mul_f64 v[84:85], v[142:143], s[8:9]
	v_add_f64 v[136:137], v[66:67], -v[30:31]
	v_add_f64 v[4:5], v[52:53], v[4:5]
	v_add_f64 v[52:53], v[44:45], v[54:55]
	v_fma_f64 v[54:55], v[122:123], s[12:13], -v[82:83]
	s_mov_b32 s14, 0x6c9a05f6
	s_mov_b32 s24, 0x75d4884
	;; [unrolled: 1-line block ×4, first 2 shown]
	v_add_f64 v[90:91], v[48:49], -v[8:9]
	v_mul_f64 v[16:17], v[96:97], s[14:15]
	v_add_f64 v[108:109], v[62:63], v[42:43]
	v_fma_f64 v[56:57], v[102:103], s[24:25], v[18:19]
	v_add_f64 v[52:53], v[54:55], v[52:53]
	v_fma_f64 v[54:55], v[118:119], s[10:11], -v[84:85]
	v_add_f64 v[116:117], v[64:65], v[28:29]
	v_mul_f64 v[152:153], v[136:137], s[44:45]
	v_add_f64 v[134:135], v[62:63], -v[42:43]
	s_mov_b32 s38, 0x7c9e640b
	s_mov_b32 s20, 0x6ed5f1bb
	;; [unrolled: 1-line block ×4, first 2 shown]
	v_mul_f64 v[86:87], v[90:91], s[38:39]
	v_add_f64 v[110:111], v[50:51], v[10:11]
	v_fma_f64 v[58:59], v[108:109], s[20:21], v[16:17]
	v_add_f64 v[4:5], v[56:57], v[4:5]
	v_add_f64 v[52:53], v[54:55], v[52:53]
	v_fma_f64 v[54:55], v[116:117], s[24:25], -v[152:153]
	v_add_f64 v[124:125], v[60:61], v[40:41]
	v_mul_f64 v[156:157], v[134:135], s[14:15]
	v_add_f64 v[88:89], v[36:37], -v[12:13]
	v_add_f64 v[126:127], v[50:51], -v[10:11]
	s_mov_b32 s34, 0x2b2883cd
	s_mov_b32 s35, 0x3fdc86fa
	v_fma_f64 v[56:57], v[110:111], s[34:35], v[86:87]
	v_add_f64 v[4:5], v[58:59], v[4:5]
	v_add_f64 v[52:53], v[54:55], v[52:53]
	v_fma_f64 v[54:55], v[124:125], s[20:21], -v[156:157]
	s_mov_b32 s28, 0x923c349f
	s_mov_b32 s29, 0xbfeec746
	v_mul_f64 v[154:155], v[88:89], s[28:29]
	v_add_f64 v[112:113], v[38:39], v[14:15]
	v_add_f64 v[120:121], v[48:49], v[8:9]
	v_mul_f64 v[158:159], v[126:127], s[38:39]
	v_add_f64 v[130:131], v[38:39], -v[14:15]
	v_fma_f64 v[0:1], v[98:99], s[4:5], -v[0:1]
	v_add_f64 v[4:5], v[56:57], v[4:5]
	v_add_f64 v[146:147], v[54:55], v[52:53]
	ds_read_b128 v[56:59], v140 offset:15360
	ds_read_b128 v[52:55], v140 offset:17280
	s_mov_b32 s26, 0xc61f0d01
	s_mov_b32 s27, 0xbfd183b1
	v_fma_f64 v[132:133], v[112:113], s[26:27], v[154:155]
	v_fma_f64 v[150:151], v[120:121], s[34:35], -v[158:159]
	s_waitcnt lgkmcnt(0)
	v_add_f64 v[148:149], v[56:57], -v[52:53]
	v_add_f64 v[140:141], v[36:37], v[12:13]
	v_mul_f64 v[160:161], v[130:131], s[28:29]
	v_fma_f64 v[2:3], v[94:95], s[12:13], -v[2:3]
	v_add_f64 v[0:1], v[46:47], v[0:1]
	s_mov_b32 s52, 0xeb564b22
	s_mov_b32 s53, 0x3fefdd0d
	v_add_f64 v[4:5], v[132:133], v[4:5]
	v_add_f64 v[162:163], v[150:151], v[146:147]
	v_mul_f64 v[164:165], v[148:149], s[52:53]
	v_add_f64 v[132:133], v[58:59], v[54:55]
	v_fma_f64 v[166:167], v[140:141], s[26:27], -v[160:161]
	v_add_f64 v[146:147], v[58:59], -v[54:55]
	v_add_f64 v[0:1], v[2:3], v[0:1]
	v_fma_f64 v[2:3], v[92:93], s[10:11], -v[6:7]
	v_fma_f64 v[6:7], v[128:129], s[4:5], v[80:81]
	v_mul_f64 v[168:169], v[114:115], s[8:9]
	s_mov_b32 s36, 0x3259b75e
	s_mov_b32 s37, 0x3fb79ee6
	v_fma_f64 v[80:81], v[132:133], s[36:37], v[164:165]
	v_add_f64 v[150:151], v[56:57], v[52:53]
	v_mul_f64 v[170:171], v[146:147], s[52:53]
	v_add_f64 v[0:1], v[2:3], v[0:1]
	v_fma_f64 v[18:19], v[102:103], s[24:25], -v[18:19]
	v_fma_f64 v[82:83], v[122:123], s[12:13], v[82:83]
	v_add_f64 v[6:7], v[44:45], v[6:7]
	v_add_f64 v[162:163], v[166:167], v[162:163]
	v_fma_f64 v[166:167], v[98:99], s[10:11], v[168:169]
	v_mul_f64 v[172:173], v[106:107], s[38:39]
	s_mov_b32 s41, 0xbfefdd0d
	s_mov_b32 s40, s52
	v_add_f64 v[2:3], v[80:81], v[4:5]
	v_fma_f64 v[4:5], v[150:151], s[36:37], -v[170:171]
	v_add_f64 v[18:19], v[18:19], v[0:1]
	v_fma_f64 v[16:17], v[108:109], s[20:21], -v[16:17]
	v_add_f64 v[6:7], v[82:83], v[6:7]
	v_fma_f64 v[80:81], v[118:119], s[10:11], v[84:85]
	v_add_f64 v[82:83], v[46:47], v[166:167]
	v_fma_f64 v[84:85], v[94:95], s[34:35], v[172:173]
	v_mul_f64 v[166:167], v[104:105], s[40:41]
	v_mul_f64 v[174:175], v[144:145], s[8:9]
	s_mov_b32 s51, 0x3fe9895b
	s_mov_b32 s50, s14
	v_add_f64 v[0:1], v[4:5], v[162:163]
	v_add_f64 v[4:5], v[16:17], v[18:19]
	v_fma_f64 v[16:17], v[110:111], s[34:35], -v[86:87]
	v_add_f64 v[6:7], v[80:81], v[6:7]
	v_fma_f64 v[18:19], v[116:117], s[24:25], v[152:153]
	v_add_f64 v[80:81], v[84:85], v[82:83]
	v_fma_f64 v[82:83], v[92:93], s[36:37], v[166:167]
	v_fma_f64 v[84:85], v[128:129], s[10:11], -v[174:175]
	v_mul_f64 v[86:87], v[138:139], s[38:39]
	v_mul_f64 v[152:153], v[100:101], s[50:51]
	s_mov_b32 s43, 0xbfd71e95
	s_mov_b32 s42, s30
	v_add_f64 v[4:5], v[16:17], v[4:5]
	v_add_f64 v[6:7], v[18:19], v[6:7]
	v_fma_f64 v[16:17], v[124:125], s[20:21], v[156:157]
	v_add_f64 v[18:19], v[44:45], v[84:85]
	v_fma_f64 v[84:85], v[122:123], s[34:35], -v[86:87]
	v_mul_f64 v[156:157], v[142:143], s[40:41]
	v_add_f64 v[80:81], v[82:83], v[80:81]
	v_fma_f64 v[82:83], v[102:103], s[20:21], v[152:153]
	v_mul_f64 v[162:163], v[96:97], s[42:43]
	v_fma_f64 v[154:155], v[112:113], s[26:27], -v[154:155]
	v_mul_f64 v[176:177], v[136:137], s[50:51]
	v_add_f64 v[6:7], v[16:17], v[6:7]
	v_add_f64 v[18:19], v[84:85], v[18:19]
	v_fma_f64 v[84:85], v[118:119], s[36:37], -v[156:157]
	v_fma_f64 v[16:17], v[120:121], s[34:35], v[158:159]
	v_add_f64 v[80:81], v[82:83], v[80:81]
	v_fma_f64 v[82:83], v[108:109], s[12:13], v[162:163]
	v_mul_f64 v[158:159], v[90:91], s[6:7]
	v_add_f64 v[4:5], v[154:155], v[4:5]
	v_mul_f64 v[154:155], v[134:135], s[42:43]
	v_mul_f64 v[178:179], v[88:89], s[44:45]
	v_add_f64 v[18:19], v[84:85], v[18:19]
	v_fma_f64 v[84:85], v[116:117], s[20:21], -v[176:177]
	v_add_f64 v[6:7], v[16:17], v[6:7]
	v_fma_f64 v[16:17], v[140:141], s[26:27], v[160:161]
	v_add_f64 v[80:81], v[82:83], v[80:81]
	v_fma_f64 v[82:83], v[110:111], s[4:5], v[158:159]
	v_fma_f64 v[160:161], v[98:99], s[10:11], -v[168:169]
	v_mul_f64 v[180:181], v[126:127], s[6:7]
	v_mul_f64 v[188:189], v[148:149], s[28:29]
	v_add_f64 v[18:19], v[84:85], v[18:19]
	v_fma_f64 v[84:85], v[124:125], s[12:13], -v[154:155]
	v_add_f64 v[6:7], v[16:17], v[6:7]
	v_fma_f64 v[16:17], v[132:133], s[36:37], -v[164:165]
	v_fma_f64 v[164:165], v[94:95], s[34:35], -v[172:173]
	v_add_f64 v[160:161], v[46:47], v[160:161]
	v_add_f64 v[80:81], v[82:83], v[80:81]
	v_fma_f64 v[82:83], v[112:113], s[24:25], v[178:179]
	v_mul_f64 v[172:173], v[130:131], s[44:45]
	v_add_f64 v[18:19], v[84:85], v[18:19]
	v_fma_f64 v[84:85], v[120:121], s[4:5], -v[180:181]
	v_fma_f64 v[168:169], v[150:151], s[36:37], v[170:171]
	v_fma_f64 v[170:171], v[132:133], s[26:27], v[188:189]
	v_add_f64 v[160:161], v[164:165], v[160:161]
	v_fma_f64 v[164:165], v[128:129], s[10:11], v[174:175]
	v_add_f64 v[80:81], v[82:83], v[80:81]
	v_fma_f64 v[166:167], v[92:93], s[36:37], -v[166:167]
	s_mov_b32 s49, 0x3feec746
	v_add_f64 v[82:83], v[84:85], v[18:19]
	v_fma_f64 v[84:85], v[140:141], s[24:25], -v[172:173]
	v_add_f64 v[18:19], v[16:17], v[4:5]
	v_fma_f64 v[4:5], v[122:123], s[34:35], v[86:87]
	v_add_f64 v[86:87], v[44:45], v[164:165]
	v_add_f64 v[16:17], v[168:169], v[6:7]
	;; [unrolled: 1-line block ×3, first 2 shown]
	v_mul_f64 v[80:81], v[114:115], s[14:15]
	s_mov_b32 s48, s28
	v_add_f64 v[160:161], v[166:167], v[160:161]
	v_fma_f64 v[152:153], v[102:103], s[20:21], -v[152:153]
	v_add_f64 v[174:175], v[84:85], v[82:83]
	v_add_f64 v[4:5], v[4:5], v[86:87]
	v_fma_f64 v[82:83], v[118:119], s[36:37], v[156:157]
	v_mul_f64 v[86:87], v[144:145], s[14:15]
	v_fma_f64 v[156:157], v[98:99], s[20:21], v[80:81]
	v_mul_f64 v[84:85], v[106:107], s[48:49]
	v_mul_f64 v[170:171], v[138:139], s[48:49]
	v_add_f64 v[152:153], v[152:153], v[160:161]
	v_fma_f64 v[160:161], v[108:109], s[12:13], -v[162:163]
	v_fma_f64 v[162:163], v[116:117], s[20:21], v[176:177]
	v_add_f64 v[4:5], v[82:83], v[4:5]
	v_fma_f64 v[164:165], v[128:129], s[20:21], -v[86:87]
	v_add_f64 v[156:157], v[46:47], v[156:157]
	v_fma_f64 v[166:167], v[94:95], s[26:27], v[84:85]
	v_mul_f64 v[82:83], v[104:105], s[42:43]
	v_fma_f64 v[154:155], v[124:125], s[12:13], v[154:155]
	v_add_f64 v[152:153], v[160:161], v[152:153]
	v_mul_f64 v[168:169], v[142:143], s[42:43]
	v_add_f64 v[4:5], v[162:163], v[4:5]
	v_add_f64 v[160:161], v[44:45], v[164:165]
	v_fma_f64 v[164:165], v[122:123], s[26:27], -v[170:171]
	v_add_f64 v[156:157], v[166:167], v[156:157]
	v_fma_f64 v[182:183], v[92:93], s[12:13], v[82:83]
	v_mul_f64 v[162:163], v[100:101], s[8:9]
	s_mov_b32 s47, 0xbfe58eea
	s_mov_b32 s46, s44
	v_add_f64 v[4:5], v[154:155], v[4:5]
	v_fma_f64 v[154:155], v[120:121], s[4:5], v[180:181]
	v_add_f64 v[164:165], v[164:165], v[160:161]
	v_fma_f64 v[180:181], v[118:119], s[12:13], -v[168:169]
	v_add_f64 v[156:157], v[182:183], v[156:157]
	v_fma_f64 v[182:183], v[102:103], s[10:11], v[162:163]
	v_mul_f64 v[160:161], v[96:97], s[52:53]
	v_mul_f64 v[190:191], v[146:147], s[28:29]
	v_fma_f64 v[158:159], v[110:111], s[4:5], -v[158:159]
	v_mul_f64 v[166:167], v[136:137], s[8:9]
	v_add_f64 v[154:155], v[154:155], v[4:5]
	v_add_f64 v[4:5], v[180:181], v[164:165]
	v_fma_f64 v[178:179], v[112:113], s[24:25], -v[178:179]
	v_add_f64 v[180:181], v[182:183], v[156:157]
	v_fma_f64 v[182:183], v[108:109], s[36:37], v[160:161]
	v_mul_f64 v[156:157], v[90:91], s[46:47]
	v_fma_f64 v[176:177], v[150:151], s[26:27], -v[190:191]
	v_add_f64 v[152:153], v[158:159], v[152:153]
	v_fma_f64 v[158:159], v[116:117], s[10:11], -v[166:167]
	v_fma_f64 v[80:81], v[98:99], s[20:21], -v[80:81]
	v_fma_f64 v[86:87], v[128:129], s[20:21], v[86:87]
	v_mul_f64 v[164:165], v[134:135], s[52:53]
	v_add_f64 v[180:181], v[182:183], v[180:181]
	v_fma_f64 v[194:195], v[110:111], s[24:25], v[156:157]
	v_fma_f64 v[172:173], v[140:141], s[24:25], v[172:173]
	v_fma_f64 v[84:85], v[94:95], s[26:27], -v[84:85]
	v_add_f64 v[184:185], v[158:159], v[4:5]
	v_add_f64 v[4:5], v[176:177], v[174:175]
	;; [unrolled: 1-line block ×3, first 2 shown]
	v_fma_f64 v[178:179], v[132:133], s[26:27], -v[188:189]
	v_add_f64 v[80:81], v[46:47], v[80:81]
	v_add_f64 v[180:181], v[194:195], v[180:181]
	v_fma_f64 v[170:171], v[122:123], s[26:27], v[170:171]
	v_add_f64 v[194:195], v[44:45], v[86:87]
	v_fma_f64 v[192:193], v[124:125], s[36:37], -v[164:165]
	v_mul_f64 v[158:159], v[126:127], s[46:47]
	v_add_f64 v[172:173], v[172:173], v[154:155]
	v_fma_f64 v[176:177], v[150:151], s[26:27], v[190:191]
	v_add_f64 v[86:87], v[178:179], v[174:175]
	v_add_f64 v[174:175], v[84:85], v[80:81]
	v_fma_f64 v[178:179], v[92:93], s[12:13], -v[82:83]
	v_add_f64 v[170:171], v[170:171], v[194:195]
	v_fma_f64 v[168:169], v[118:119], s[12:13], v[168:169]
	v_mul_f64 v[152:153], v[88:89], s[6:7]
	v_add_f64 v[182:183], v[192:193], v[184:185]
	v_fma_f64 v[184:185], v[120:121], s[24:25], -v[158:159]
	v_mul_f64 v[154:155], v[130:131], s[6:7]
	v_add_f64 v[84:85], v[176:177], v[172:173]
	v_mul_f64 v[172:173], v[114:115], s[28:29]
	v_add_f64 v[174:175], v[178:179], v[174:175]
	v_fma_f64 v[162:163], v[102:103], s[10:11], -v[162:163]
	v_add_f64 v[168:169], v[168:169], v[170:171]
	v_fma_f64 v[166:167], v[116:117], s[10:11], v[166:167]
	s_mov_b32 s57, 0x3fe0d888
	s_mov_b32 s56, s8
	v_fma_f64 v[188:189], v[112:113], s[4:5], v[152:153]
	v_add_f64 v[182:183], v[184:185], v[182:183]
	v_fma_f64 v[184:185], v[140:141], s[4:5], -v[154:155]
	v_mul_f64 v[190:191], v[148:149], s[38:39]
	v_mul_f64 v[192:193], v[146:147], s[38:39]
	v_add_f64 v[78:79], v[46:47], v[78:79]
	v_fma_f64 v[170:171], v[98:99], s[26:27], v[172:173]
	v_mul_f64 v[176:177], v[106:107], s[56:57]
	v_add_f64 v[162:163], v[162:163], v[174:175]
	v_fma_f64 v[160:161], v[108:109], s[36:37], -v[160:161]
	v_add_f64 v[166:167], v[166:167], v[168:169]
	v_fma_f64 v[164:165], v[124:125], s[36:37], v[164:165]
	v_mul_f64 v[168:169], v[144:145], s[28:29]
	v_add_f64 v[180:181], v[188:189], v[180:181]
	v_add_f64 v[182:183], v[184:185], v[182:183]
	v_fma_f64 v[184:185], v[132:133], s[34:35], v[190:191]
	v_fma_f64 v[188:189], v[150:151], s[34:35], -v[192:193]
	v_add_f64 v[78:79], v[78:79], v[74:75]
	v_add_f64 v[74:75], v[46:47], v[170:171]
	v_fma_f64 v[170:171], v[94:95], s[10:11], v[176:177]
	v_mul_f64 v[174:175], v[104:105], s[44:45]
	v_add_f64 v[160:161], v[160:161], v[162:163]
	v_add_f64 v[162:163], v[164:165], v[166:167]
	v_fma_f64 v[164:165], v[128:129], s[26:27], -v[168:169]
	v_mul_f64 v[166:167], v[138:139], s[56:57]
	v_add_f64 v[82:83], v[184:185], v[180:181]
	v_add_f64 v[80:81], v[188:189], v[182:183]
	v_fma_f64 v[156:157], v[110:111], s[24:25], -v[156:157]
	v_fma_f64 v[158:159], v[120:121], s[24:25], v[158:159]
	v_add_f64 v[74:75], v[170:171], v[74:75]
	v_fma_f64 v[170:171], v[92:93], s[24:25], v[174:175]
	v_add_f64 v[164:165], v[44:45], v[164:165]
	v_fma_f64 v[180:181], v[122:123], s[10:11], -v[166:167]
	v_mul_f64 v[182:183], v[142:143], s[44:45]
	s_mov_b32 s55, 0xbfeca52d
	s_mov_b32 s54, s38
	v_mul_f64 v[178:179], v[100:101], s[54:55]
	v_add_f64 v[156:157], v[156:157], v[160:161]
	v_fma_f64 v[152:153], v[112:113], s[4:5], -v[152:153]
	v_add_f64 v[158:159], v[158:159], v[162:163]
	v_fma_f64 v[154:155], v[140:141], s[4:5], v[154:155]
	v_add_f64 v[74:75], v[170:171], v[74:75]
	v_add_f64 v[162:163], v[180:181], v[164:165]
	v_fma_f64 v[164:165], v[118:119], s[24:25], -v[182:183]
	v_mul_f64 v[170:171], v[136:137], s[54:55]
	v_add_f64 v[76:77], v[44:45], v[76:77]
	v_fma_f64 v[160:161], v[102:103], s[34:35], v[178:179]
	v_add_f64 v[152:153], v[152:153], v[156:157]
	v_mul_f64 v[156:157], v[96:97], s[6:7]
	v_add_f64 v[154:155], v[154:155], v[158:159]
	v_fma_f64 v[158:159], v[132:133], s[34:35], -v[190:191]
	v_fma_f64 v[180:181], v[150:151], s[34:35], v[192:193]
	v_add_f64 v[162:163], v[164:165], v[162:163]
	v_fma_f64 v[164:165], v[116:117], s[34:35], -v[170:171]
	v_mul_f64 v[184:185], v[134:135], s[6:7]
	v_add_f64 v[160:161], v[160:161], v[74:75]
	v_fma_f64 v[188:189], v[108:109], s[4:5], v[156:157]
	v_add_f64 v[76:77], v[76:77], v[72:73]
	v_mul_f64 v[190:191], v[90:91], s[52:53]
	v_add_f64 v[74:75], v[158:159], v[152:153]
	v_fma_f64 v[152:153], v[98:99], s[26:27], -v[172:173]
	v_add_f64 v[72:73], v[180:181], v[154:155]
	v_add_f64 v[154:155], v[164:165], v[162:163]
	v_fma_f64 v[158:159], v[124:125], s[4:5], -v[184:185]
	v_add_f64 v[160:161], v[188:189], v[160:161]
	v_mul_f64 v[162:163], v[126:127], s[52:53]
	v_fma_f64 v[164:165], v[110:111], s[36:37], v[190:191]
	v_fma_f64 v[172:173], v[94:95], s[10:11], -v[176:177]
	v_add_f64 v[152:153], v[46:47], v[152:153]
	v_add_f64 v[78:79], v[78:79], v[70:71]
	v_mul_f64 v[176:177], v[88:89], s[42:43]
	v_add_f64 v[70:71], v[158:159], v[154:155]
	v_fma_f64 v[154:155], v[128:129], s[26:27], v[168:169]
	v_fma_f64 v[158:159], v[120:121], s[36:37], -v[162:163]
	v_mul_f64 v[168:169], v[130:131], s[42:43]
	v_add_f64 v[160:161], v[164:165], v[160:161]
	v_add_f64 v[152:153], v[172:173], v[152:153]
	v_fma_f64 v[164:165], v[92:93], s[24:25], -v[174:175]
	v_fma_f64 v[166:167], v[122:123], s[10:11], v[166:167]
	v_fma_f64 v[172:173], v[112:113], s[12:13], v[176:177]
	v_add_f64 v[154:155], v[44:45], v[154:155]
	v_add_f64 v[70:71], v[158:159], v[70:71]
	v_fma_f64 v[158:159], v[140:141], s[12:13], -v[168:169]
	v_mul_f64 v[174:175], v[148:149], s[14:15]
	v_mul_f64 v[180:181], v[146:147], s[14:15]
	v_add_f64 v[152:153], v[164:165], v[152:153]
	v_fma_f64 v[164:165], v[102:103], s[34:35], -v[178:179]
	v_add_f64 v[160:161], v[172:173], v[160:161]
	v_add_f64 v[154:155], v[166:167], v[154:155]
	v_fma_f64 v[166:167], v[118:119], s[24:25], v[182:183]
	v_add_f64 v[158:159], v[158:159], v[70:71]
	v_fma_f64 v[70:71], v[132:133], s[20:21], v[174:175]
	v_mul_f64 v[172:173], v[114:115], s[40:41]
	v_fma_f64 v[178:179], v[150:151], s[20:21], -v[180:181]
	v_add_f64 v[152:153], v[164:165], v[152:153]
	v_fma_f64 v[156:157], v[108:109], s[4:5], -v[156:157]
	v_fma_f64 v[164:165], v[116:117], s[34:35], v[170:171]
	v_add_f64 v[154:155], v[166:167], v[154:155]
	v_add_f64 v[76:77], v[76:77], v[68:69]
	;; [unrolled: 1-line block ×3, first 2 shown]
	v_fma_f64 v[160:161], v[98:99], s[36:37], v[172:173]
	v_mul_f64 v[166:167], v[106:107], s[6:7]
	v_add_f64 v[68:69], v[178:179], v[158:159]
	v_add_f64 v[152:153], v[156:157], v[152:153]
	v_mul_f64 v[156:157], v[144:145], s[40:41]
	v_fma_f64 v[158:159], v[110:111], s[36:37], -v[190:191]
	v_add_f64 v[154:155], v[164:165], v[154:155]
	v_fma_f64 v[164:165], v[124:125], s[4:5], v[184:185]
	v_add_f64 v[160:161], v[46:47], v[160:161]
	v_fma_f64 v[170:171], v[94:95], s[4:5], v[166:167]
	v_mul_f64 v[178:179], v[104:105], s[48:49]
	v_add_f64 v[78:79], v[78:79], v[66:67]
	v_fma_f64 v[66:67], v[128:129], s[36:37], -v[156:157]
	v_mul_f64 v[182:183], v[138:139], s[6:7]
	v_add_f64 v[152:153], v[158:159], v[152:153]
	v_add_f64 v[154:155], v[164:165], v[154:155]
	v_fma_f64 v[158:159], v[120:121], s[36:37], v[162:163]
	v_add_f64 v[160:161], v[170:171], v[160:161]
	v_fma_f64 v[162:163], v[92:93], s[26:27], v[178:179]
	v_mul_f64 v[164:165], v[100:101], s[30:31]
	v_add_f64 v[66:67], v[44:45], v[66:67]
	v_fma_f64 v[170:171], v[122:123], s[4:5], -v[182:183]
	v_mul_f64 v[184:185], v[142:143], s[48:49]
	v_fma_f64 v[176:177], v[112:113], s[12:13], -v[176:177]
	v_add_f64 v[154:155], v[158:159], v[154:155]
	v_fma_f64 v[158:159], v[140:141], s[12:13], v[168:169]
	v_add_f64 v[160:161], v[162:163], v[160:161]
	v_fma_f64 v[162:163], v[102:103], s[12:13], v[164:165]
	v_mul_f64 v[168:169], v[96:97], s[54:55]
	v_add_f64 v[66:67], v[170:171], v[66:67]
	v_fma_f64 v[170:171], v[118:119], s[26:27], -v[184:185]
	v_mul_f64 v[188:189], v[136:137], s[30:31]
	v_add_f64 v[152:153], v[176:177], v[152:153]
	v_add_f64 v[154:155], v[158:159], v[154:155]
	v_fma_f64 v[158:159], v[132:133], s[20:21], -v[174:175]
	v_fma_f64 v[174:175], v[150:151], s[20:21], v[180:181]
	v_add_f64 v[160:161], v[162:163], v[160:161]
	v_fma_f64 v[162:163], v[108:109], s[34:35], v[168:169]
	v_add_f64 v[170:171], v[170:171], v[66:67]
	v_fma_f64 v[176:177], v[116:117], s[12:13], -v[188:189]
	v_mul_f64 v[180:181], v[134:135], s[54:55]
	v_mul_f64 v[190:191], v[90:91], s[8:9]
	v_add_f64 v[66:67], v[158:159], v[152:153]
	v_fma_f64 v[152:153], v[98:99], s[36:37], -v[172:173]
	v_add_f64 v[76:77], v[76:77], v[64:65]
	v_add_f64 v[64:65], v[174:175], v[154:155]
	;; [unrolled: 1-line block ×4, first 2 shown]
	v_fma_f64 v[160:161], v[124:125], s[34:35], -v[180:181]
	v_mul_f64 v[162:163], v[126:127], s[8:9]
	v_fma_f64 v[170:171], v[110:111], s[10:11], v[190:191]
	v_fma_f64 v[166:167], v[94:95], s[4:5], -v[166:167]
	v_add_f64 v[152:153], v[46:47], v[152:153]
	v_add_f64 v[78:79], v[78:79], v[62:63]
	v_fma_f64 v[62:63], v[128:129], s[36:37], v[156:157]
	v_mul_f64 v[172:173], v[88:89], s[50:51]
	v_add_f64 v[156:157], v[160:161], v[158:159]
	v_fma_f64 v[158:159], v[120:121], s[10:11], -v[162:163]
	v_mul_f64 v[160:161], v[130:131], s[50:51]
	v_add_f64 v[154:155], v[170:171], v[154:155]
	v_add_f64 v[152:153], v[166:167], v[152:153]
	v_fma_f64 v[166:167], v[92:93], s[26:27], -v[178:179]
	v_fma_f64 v[170:171], v[122:123], s[4:5], v[182:183]
	v_add_f64 v[62:63], v[44:45], v[62:63]
	v_fma_f64 v[174:175], v[112:113], s[20:21], v[172:173]
	v_add_f64 v[156:157], v[158:159], v[156:157]
	v_fma_f64 v[158:159], v[140:141], s[20:21], -v[160:161]
	v_mul_f64 v[176:177], v[148:149], s[44:45]
	v_mul_f64 v[178:179], v[146:147], s[44:45]
	v_add_f64 v[152:153], v[166:167], v[152:153]
	v_fma_f64 v[164:165], v[102:103], s[12:13], -v[164:165]
	v_add_f64 v[62:63], v[170:171], v[62:63]
	v_fma_f64 v[166:167], v[118:119], s[26:27], v[184:185]
	v_add_f64 v[154:155], v[174:175], v[154:155]
	v_add_f64 v[156:157], v[158:159], v[156:157]
	v_fma_f64 v[158:159], v[132:133], s[24:25], v[176:177]
	v_mul_f64 v[170:171], v[114:115], s[54:55]
	v_fma_f64 v[174:175], v[150:151], s[24:25], -v[178:179]
	v_add_f64 v[152:153], v[164:165], v[152:153]
	v_fma_f64 v[164:165], v[108:109], s[34:35], -v[168:169]
	v_add_f64 v[166:167], v[166:167], v[62:63]
	v_fma_f64 v[168:169], v[116:117], s[12:13], v[188:189]
	v_add_f64 v[76:77], v[76:77], v[60:61]
	v_add_f64 v[62:63], v[158:159], v[154:155]
	v_fma_f64 v[154:155], v[98:99], s[34:35], v[170:171]
	v_mul_f64 v[158:159], v[106:107], s[14:15]
	v_add_f64 v[60:61], v[174:175], v[156:157]
	v_add_f64 v[152:153], v[164:165], v[152:153]
	v_fma_f64 v[156:157], v[110:111], s[10:11], -v[190:191]
	v_add_f64 v[164:165], v[168:169], v[166:167]
	v_mul_f64 v[166:167], v[144:145], s[54:55]
	v_fma_f64 v[168:169], v[124:125], s[34:35], v[180:181]
	s_mov_b32 s51, 0x3fc7851a
	s_mov_b32 s50, s6
	v_add_f64 v[154:155], v[46:47], v[154:155]
	v_fma_f64 v[174:175], v[94:95], s[20:21], v[158:159]
	v_mul_f64 v[180:181], v[104:105], s[50:51]
	v_add_f64 v[50:51], v[78:79], v[50:51]
	v_fma_f64 v[78:79], v[128:129], s[34:35], -v[166:167]
	v_mul_f64 v[182:183], v[138:139], s[14:15]
	v_add_f64 v[152:153], v[156:157], v[152:153]
	v_add_f64 v[156:157], v[168:169], v[164:165]
	v_fma_f64 v[162:163], v[120:121], s[10:11], v[162:163]
	v_add_f64 v[154:155], v[174:175], v[154:155]
	v_fma_f64 v[164:165], v[92:93], s[4:5], v[180:181]
	v_mul_f64 v[168:169], v[100:101], s[48:49]
	v_add_f64 v[78:79], v[44:45], v[78:79]
	v_fma_f64 v[174:175], v[122:123], s[20:21], -v[182:183]
	v_mul_f64 v[184:185], v[142:143], s[50:51]
	v_fma_f64 v[172:173], v[112:113], s[20:21], -v[172:173]
	v_add_f64 v[156:157], v[162:163], v[156:157]
	v_fma_f64 v[160:161], v[140:141], s[20:21], v[160:161]
	v_add_f64 v[154:155], v[164:165], v[154:155]
	v_fma_f64 v[162:163], v[102:103], s[26:27], v[168:169]
	v_mul_f64 v[164:165], v[96:97], s[44:45]
	v_add_f64 v[78:79], v[174:175], v[78:79]
	v_fma_f64 v[174:175], v[118:119], s[4:5], -v[184:185]
	v_mul_f64 v[188:189], v[136:137], s[48:49]
	v_add_f64 v[48:49], v[76:77], v[48:49]
	v_add_f64 v[76:77], v[172:173], v[152:153]
	;; [unrolled: 1-line block ×3, first 2 shown]
	v_fma_f64 v[156:157], v[132:133], s[24:25], -v[176:177]
	v_add_f64 v[154:155], v[162:163], v[154:155]
	v_fma_f64 v[160:161], v[108:109], s[24:25], v[164:165]
	v_add_f64 v[162:163], v[174:175], v[78:79]
	v_fma_f64 v[172:173], v[116:117], s[26:27], -v[188:189]
	v_mul_f64 v[174:175], v[134:135], s[44:45]
	v_fma_f64 v[176:177], v[150:151], s[24:25], v[178:179]
	v_mul_f64 v[178:179], v[90:91], s[42:43]
	v_add_f64 v[78:79], v[156:157], v[76:77]
	v_fma_f64 v[76:77], v[98:99], s[34:35], -v[170:171]
	v_fma_f64 v[156:157], v[128:129], s[34:35], v[166:167]
	v_add_f64 v[154:155], v[160:161], v[154:155]
	v_add_f64 v[160:161], v[172:173], v[162:163]
	v_fma_f64 v[162:163], v[124:125], s[24:25], -v[174:175]
	v_mul_f64 v[166:167], v[126:127], s[42:43]
	v_fma_f64 v[170:171], v[110:111], s[12:13], v[178:179]
	v_fma_f64 v[158:159], v[94:95], s[20:21], -v[158:159]
	v_add_f64 v[76:77], v[46:47], v[76:77]
	v_fma_f64 v[172:173], v[122:123], s[20:21], v[182:183]
	v_add_f64 v[156:157], v[44:45], v[156:157]
	v_mul_f64 v[182:183], v[88:89], s[40:41]
	v_add_f64 v[160:161], v[162:163], v[160:161]
	v_fma_f64 v[162:163], v[120:121], s[12:13], -v[166:167]
	v_mul_f64 v[190:191], v[130:131], s[40:41]
	v_add_f64 v[154:155], v[170:171], v[154:155]
	v_add_f64 v[76:77], v[158:159], v[76:77]
	v_fma_f64 v[158:159], v[92:93], s[4:5], -v[180:181]
	v_add_f64 v[156:157], v[172:173], v[156:157]
	v_fma_f64 v[170:171], v[118:119], s[4:5], v[184:185]
	v_fma_f64 v[172:173], v[112:113], s[36:37], v[182:183]
	v_add_f64 v[160:161], v[162:163], v[160:161]
	v_fma_f64 v[162:163], v[140:141], s[36:37], -v[190:191]
	v_mul_f64 v[180:181], v[148:149], s[8:9]
	v_mul_f64 v[184:185], v[146:147], s[8:9]
	v_add_f64 v[158:159], v[158:159], v[76:77]
	v_fma_f64 v[168:169], v[102:103], s[26:27], -v[168:169]
	v_add_f64 v[156:157], v[170:171], v[156:157]
	v_fma_f64 v[170:171], v[116:117], s[26:27], v[188:189]
	v_add_f64 v[76:77], v[176:177], v[152:153]
	v_add_f64 v[152:153], v[172:173], v[154:155]
	;; [unrolled: 1-line block ×3, first 2 shown]
	v_fma_f64 v[160:161], v[132:133], s[10:11], v[180:181]
	v_fma_f64 v[162:163], v[150:151], s[10:11], -v[184:185]
	v_add_f64 v[158:159], v[168:169], v[158:159]
	v_fma_f64 v[164:165], v[108:109], s[24:25], -v[164:165]
	v_add_f64 v[156:157], v[170:171], v[156:157]
	v_fma_f64 v[168:169], v[124:125], s[24:25], v[174:175]
	v_add_f64 v[50:51], v[50:51], v[38:39]
	v_add_f64 v[48:49], v[48:49], v[36:37]
	;; [unrolled: 1-line block ×3, first 2 shown]
	v_mul_f64 v[152:153], v[114:115], s[46:47]
	v_add_f64 v[36:37], v[162:163], v[154:155]
	v_add_f64 v[154:155], v[164:165], v[158:159]
	v_fma_f64 v[158:159], v[110:111], s[12:13], -v[178:179]
	v_add_f64 v[156:157], v[168:169], v[156:157]
	v_fma_f64 v[160:161], v[120:121], s[12:13], v[166:167]
	v_mul_f64 v[162:163], v[144:145], s[46:47]
	v_add_f64 v[50:51], v[50:51], v[58:59]
	v_fma_f64 v[58:59], v[98:99], s[24:25], v[152:153]
	v_mul_f64 v[164:165], v[106:107], s[40:41]
	v_add_f64 v[48:49], v[48:49], v[56:57]
	v_add_f64 v[56:57], v[158:159], v[154:155]
	v_fma_f64 v[154:155], v[112:113], s[36:37], -v[182:183]
	v_add_f64 v[156:157], v[160:161], v[156:157]
	v_fma_f64 v[158:159], v[128:129], s[24:25], -v[162:163]
	v_mul_f64 v[160:161], v[138:139], s[40:41]
	v_add_f64 v[58:59], v[46:47], v[58:59]
	v_fma_f64 v[166:167], v[94:95], s[36:37], v[164:165]
	v_mul_f64 v[168:169], v[104:105], s[14:15]
	v_fma_f64 v[170:171], v[140:141], s[36:37], v[190:191]
	v_add_f64 v[56:57], v[154:155], v[56:57]
	v_fma_f64 v[154:155], v[132:133], s[10:11], -v[180:181]
	v_add_f64 v[158:159], v[44:45], v[158:159]
	v_fma_f64 v[172:173], v[122:123], s[36:37], -v[160:161]
	v_mul_f64 v[174:175], v[142:143], s[14:15]
	v_add_f64 v[166:167], v[166:167], v[58:59]
	v_fma_f64 v[176:177], v[92:93], s[20:21], v[168:169]
	v_add_f64 v[156:157], v[170:171], v[156:157]
	v_mul_f64 v[170:171], v[100:101], s[6:7]
	v_add_f64 v[58:59], v[154:155], v[56:57]
	v_fma_f64 v[152:153], v[98:99], s[24:25], -v[152:153]
	v_add_f64 v[154:155], v[172:173], v[158:159]
	v_fma_f64 v[158:159], v[118:119], s[20:21], -v[174:175]
	v_mul_f64 v[172:173], v[136:137], s[6:7]
	v_fma_f64 v[178:179], v[150:151], s[10:11], v[184:185]
	v_add_f64 v[166:167], v[176:177], v[166:167]
	v_fma_f64 v[176:177], v[102:103], s[4:5], v[170:171]
	v_fma_f64 v[164:165], v[94:95], s[36:37], -v[164:165]
	v_add_f64 v[152:153], v[46:47], v[152:153]
	v_fma_f64 v[162:163], v[128:129], s[24:25], v[162:163]
	v_add_f64 v[154:155], v[158:159], v[154:155]
	v_fma_f64 v[158:159], v[116:117], s[4:5], -v[172:173]
	v_add_f64 v[56:57], v[178:179], v[156:157]
	v_mul_f64 v[156:157], v[96:97], s[56:57]
	v_add_f64 v[166:167], v[176:177], v[166:167]
	v_mul_f64 v[176:177], v[134:135], s[56:57]
	v_add_f64 v[152:153], v[164:165], v[152:153]
	v_fma_f64 v[160:161], v[122:123], s[36:37], v[160:161]
	v_add_f64 v[162:163], v[44:45], v[162:163]
	v_add_f64 v[154:155], v[158:159], v[154:155]
	v_fma_f64 v[158:159], v[92:93], s[20:21], -v[168:169]
	v_fma_f64 v[178:179], v[108:109], s[10:11], v[156:157]
	v_mul_f64 v[180:181], v[90:91], s[48:49]
	v_fma_f64 v[164:165], v[124:125], s[10:11], -v[176:177]
	v_mul_f64 v[168:169], v[126:127], s[48:49]
	v_add_f64 v[54:55], v[50:51], v[54:55]
	v_add_f64 v[160:161], v[160:161], v[162:163]
	v_fma_f64 v[162:163], v[118:119], s[20:21], v[174:175]
	v_add_f64 v[152:153], v[158:159], v[152:153]
	v_fma_f64 v[158:159], v[102:103], s[4:5], -v[170:171]
	v_add_f64 v[166:167], v[178:179], v[166:167]
	v_fma_f64 v[174:175], v[110:111], s[26:27], v[180:181]
	v_mul_f64 v[178:179], v[88:89], s[38:39]
	v_add_f64 v[154:155], v[164:165], v[154:155]
	v_fma_f64 v[164:165], v[120:121], s[26:27], -v[168:169]
	v_mul_f64 v[50:51], v[130:131], s[38:39]
	v_fma_f64 v[156:157], v[108:109], s[10:11], -v[156:157]
	v_add_f64 v[152:153], v[158:159], v[152:153]
	v_add_f64 v[160:161], v[162:163], v[160:161]
	v_fma_f64 v[162:163], v[116:117], s[4:5], v[172:173]
	v_add_f64 v[166:167], v[174:175], v[166:167]
	v_fma_f64 v[158:159], v[112:113], s[34:35], v[178:179]
	v_add_f64 v[154:155], v[164:165], v[154:155]
	v_fma_f64 v[164:165], v[140:141], s[34:35], -v[50:51]
	v_mul_f64 v[172:173], v[146:147], s[30:31]
	v_add_f64 v[152:153], v[156:157], v[152:153]
	v_fma_f64 v[156:157], v[110:111], s[26:27], -v[180:181]
	v_mul_f64 v[114:115], v[114:115], s[42:43]
	v_add_f64 v[160:161], v[162:163], v[160:161]
	v_fma_f64 v[162:163], v[124:125], s[10:11], v[176:177]
	v_add_f64 v[158:159], v[158:159], v[166:167]
	v_add_f64 v[154:155], v[164:165], v[154:155]
	v_fma_f64 v[166:167], v[150:151], s[12:13], -v[172:173]
	v_mul_f64 v[106:107], v[106:107], s[46:47]
	v_add_f64 v[152:153], v[156:157], v[152:153]
	v_fma_f64 v[156:157], v[98:99], s[12:13], v[114:115]
	v_mul_f64 v[170:171], v[148:149], s[30:31]
	v_add_f64 v[160:161], v[162:163], v[160:161]
	v_fma_f64 v[162:163], v[120:121], s[26:27], v[168:169]
	v_add_f64 v[52:53], v[48:49], v[52:53]
	v_add_f64 v[48:49], v[166:167], v[154:155]
	v_mul_f64 v[104:105], v[104:105], s[54:55]
	v_fma_f64 v[168:169], v[112:113], s[34:35], -v[178:179]
	v_add_f64 v[154:155], v[46:47], v[156:157]
	v_fma_f64 v[156:157], v[94:95], s[24:25], v[106:107]
	v_fma_f64 v[164:165], v[132:133], s[12:13], v[170:171]
	v_add_f64 v[160:161], v[162:163], v[160:161]
	v_fma_f64 v[162:163], v[140:141], s[34:35], v[50:51]
	v_add_f64 v[14:15], v[54:55], v[14:15]
	v_mul_f64 v[100:101], v[100:101], s[40:41]
	v_add_f64 v[152:153], v[168:169], v[152:153]
	v_mul_f64 v[144:145], v[144:145], s[42:43]
	v_add_f64 v[154:155], v[156:157], v[154:155]
	v_fma_f64 v[156:157], v[92:93], s[34:35], v[104:105]
	v_add_f64 v[50:51], v[164:165], v[158:159]
	v_add_f64 v[158:159], v[162:163], v[160:161]
	v_fma_f64 v[160:161], v[132:133], s[12:13], -v[170:171]
	v_add_f64 v[12:13], v[52:53], v[12:13]
	v_add_f64 v[10:11], v[14:15], v[10:11]
	v_mul_f64 v[96:97], v[96:97], s[28:29]
	v_mul_f64 v[138:139], v[138:139], s[46:47]
	v_add_f64 v[14:15], v[156:157], v[154:155]
	v_fma_f64 v[154:155], v[102:103], s[36:37], v[100:101]
	v_fma_f64 v[98:99], v[98:99], s[12:13], -v[114:115]
	v_add_f64 v[54:55], v[160:161], v[152:153]
	v_fma_f64 v[152:153], v[128:129], s[12:13], -v[144:145]
	v_add_f64 v[8:9], v[12:13], v[8:9]
	v_fma_f64 v[114:115], v[128:129], s[12:13], v[144:145]
	v_fma_f64 v[144:145], v[122:123], s[24:25], -v[138:139]
	v_mul_f64 v[142:143], v[142:143], s[54:55]
	v_add_f64 v[12:13], v[154:155], v[14:15]
	v_fma_f64 v[14:15], v[108:109], s[26:27], v[96:97]
	v_mul_f64 v[90:91], v[90:91], s[14:15]
	v_add_f64 v[128:129], v[44:45], v[152:153]
	v_add_f64 v[46:47], v[46:47], v[98:99]
	v_add_f64 v[42:43], v[10:11], v[42:43]
	v_add_f64 v[44:45], v[44:45], v[114:115]
	v_fma_f64 v[114:115], v[118:119], s[34:35], -v[142:143]
	v_fma_f64 v[92:93], v[92:93], s[34:35], -v[104:105]
	v_add_f64 v[10:11], v[14:15], v[12:13]
	v_fma_f64 v[12:13], v[94:95], s[24:25], -v[106:107]
	v_add_f64 v[98:99], v[144:145], v[128:129]
	v_mul_f64 v[128:129], v[136:137], s[40:41]
	v_fma_f64 v[14:15], v[110:111], s[20:21], v[90:91]
	v_fma_f64 v[94:95], v[122:123], s[24:25], v[138:139]
	v_mul_f64 v[88:89], v[88:89], s[8:9]
	v_fma_f64 v[100:101], v[102:103], s[36:37], -v[100:101]
	v_add_f64 v[8:9], v[8:9], v[40:41]
	v_add_f64 v[12:13], v[12:13], v[46:47]
	;; [unrolled: 1-line block ×3, first 2 shown]
	v_fma_f64 v[106:107], v[116:117], s[36:37], -v[128:129]
	v_mul_f64 v[114:115], v[134:135], s[28:29]
	v_add_f64 v[10:11], v[14:15], v[10:11]
	v_fma_f64 v[14:15], v[118:119], s[34:35], v[142:143]
	v_add_f64 v[44:45], v[94:95], v[44:45]
	v_fma_f64 v[46:47], v[112:113], s[10:11], v[88:89]
	;; [unrolled: 2-line block ×3, first 2 shown]
	v_add_f64 v[94:95], v[106:107], v[98:99]
	v_fma_f64 v[98:99], v[124:125], s[26:27], -v[114:115]
	v_fma_f64 v[92:93], v[108:109], s[26:27], -v[96:97]
	v_mul_f64 v[96:97], v[126:127], s[14:15]
	v_add_f64 v[14:15], v[14:15], v[44:45]
	v_mul_f64 v[44:45], v[148:149], s[6:7]
	v_add_f64 v[12:13], v[100:101], v[12:13]
	v_add_f64 v[10:11], v[46:47], v[10:11]
	v_fma_f64 v[90:91], v[110:111], s[20:21], -v[90:91]
	v_add_f64 v[46:47], v[98:99], v[94:95]
	v_fma_f64 v[94:95], v[124:125], s[26:27], v[114:115]
	v_add_f64 v[30:31], v[42:43], v[30:31]
	v_add_f64 v[14:15], v[40:41], v[14:15]
	v_fma_f64 v[40:41], v[132:133], s[4:5], v[44:45]
	v_add_f64 v[12:13], v[92:93], v[12:13]
	v_add_f64 v[8:9], v[8:9], v[28:29]
	v_mul_f64 v[98:99], v[130:131], s[8:9]
	v_fma_f64 v[92:93], v[120:121], s[20:21], v[96:97]
	v_fma_f64 v[28:29], v[112:113], s[10:11], -v[88:89]
	v_add_f64 v[30:31], v[30:31], v[34:35]
	v_add_f64 v[14:15], v[94:95], v[14:15]
	;; [unrolled: 1-line block ×4, first 2 shown]
	v_mul_f64 v[40:41], v[146:147], s[6:7]
	v_add_f64 v[8:9], v[8:9], v[32:33]
	v_fma_f64 v[88:89], v[140:141], s[10:11], v[98:99]
	v_fma_f64 v[32:33], v[132:133], s[4:5], -v[44:45]
	v_add_f64 v[30:31], v[30:31], v[26:27]
	v_add_f64 v[14:15], v[92:93], v[14:15]
	v_fma_f64 v[162:163], v[150:151], s[12:13], v[172:173]
	v_add_f64 v[12:13], v[28:29], v[12:13]
	v_fma_f64 v[34:35], v[150:151], s[4:5], -v[40:41]
	v_fma_f64 v[28:29], v[150:151], s[4:5], v[40:41]
	v_mad_u64_u32 v[40:41], s[4:5], s16, v186, 0
	v_add_f64 v[44:45], v[8:9], v[24:25]
	v_add_f64 v[14:15], v[88:89], v[14:15]
	s_mul_i32 s1, s1, s19
	v_add_f64 v[26:27], v[32:33], v[12:13]
	v_mov_b32_e32 v12, v41
	v_mad_u64_u32 v[12:13], s[4:5], s17, v186, v[12:13]
	s_mul_hi_u32 s12, s0, s19
	s_add_i32 s1, s12, s1
	s_mul_i32 s0, s0, s19
	s_lshl_b64 s[0:1], s[0:1], 4
	v_mov_b32_e32 v41, v12
	v_mul_u32_u24_e32 v12, 17, v187
	s_add_u32 s4, s22, s0
	v_add_f64 v[22:23], v[30:31], v[22:23]
	v_add_f64 v[20:21], v[44:45], v[20:21]
	v_mul_lo_u32 v12, v12, s18
	s_addc_u32 s5, s23, s1
	s_lshl_b64 s[0:1], s[2:3], 4
	v_add_f64 v[24:25], v[28:29], v[14:15]
	s_add_u32 s0, s4, s0
	v_lshlrev_b64 v[14:15], 4, v[40:41]
	s_addc_u32 s1, s5, s1
	v_mov_b32_e32 v13, 0
	v_mov_b32_e32 v28, s1
	v_add_co_u32_e32 v14, vcc, s0, v14
	v_addc_co_u32_e32 v15, vcc, v28, v15, vcc
	v_lshlrev_b64 v[28:29], 4, v[12:13]
	v_add_u32_e32 v12, s18, v12
	v_add_co_u32_e32 v28, vcc, v14, v28
	v_addc_co_u32_e32 v29, vcc, v15, v29, vcc
	v_add_f64 v[52:53], v[162:163], v[158:159]
	global_store_dwordx4 v[28:29], v[20:23], off
	v_fma_f64 v[100:101], v[120:121], s[20:21], -v[96:97]
	v_lshlrev_b64 v[20:21], 4, v[12:13]
	v_add_u32_e32 v12, s18, v12
	v_add_co_u32_e32 v20, vcc, v14, v20
	v_addc_co_u32_e32 v21, vcc, v15, v21, vcc
	global_store_dwordx4 v[20:21], v[24:27], off
	v_lshlrev_b64 v[20:21], 4, v[12:13]
	v_add_u32_e32 v12, s18, v12
	v_add_co_u32_e32 v20, vcc, v14, v20
	v_addc_co_u32_e32 v21, vcc, v15, v21, vcc
	global_store_dwordx4 v[20:21], v[52:55], off
	;; [unrolled: 5-line block ×8, first 2 shown]
	v_fma_f64 v[42:43], v[140:141], s[10:11], -v[98:99]
	v_lshlrev_b64 v[16:17], 4, v[12:13]
	v_add_u32_e32 v12, s18, v12
	v_add_co_u32_e32 v16, vcc, v14, v16
	v_addc_co_u32_e32 v17, vcc, v15, v17, vcc
	global_store_dwordx4 v[16:17], v[0:3], off
	v_add_f64 v[46:47], v[100:101], v[46:47]
	v_lshlrev_b64 v[0:1], 4, v[12:13]
	v_add_u32_e32 v12, s18, v12
	v_add_co_u32_e32 v0, vcc, v14, v0
	v_addc_co_u32_e32 v1, vcc, v15, v1, vcc
	global_store_dwordx4 v[0:1], v[4:7], off
	v_lshlrev_b64 v[0:1], 4, v[12:13]
	v_add_u32_e32 v12, s18, v12
	v_add_co_u32_e32 v0, vcc, v14, v0
	v_addc_co_u32_e32 v1, vcc, v15, v1, vcc
	global_store_dwordx4 v[0:1], v[80:83], off
	v_lshlrev_b64 v[0:1], 4, v[12:13]
	v_add_u32_e32 v12, s18, v12
	v_add_co_u32_e32 v0, vcc, v14, v0
	v_addc_co_u32_e32 v1, vcc, v15, v1, vcc
	v_add_f64 v[42:43], v[42:43], v[46:47]
	global_store_dwordx4 v[0:1], v[68:71], off
	v_lshlrev_b64 v[0:1], 4, v[12:13]
	v_add_u32_e32 v12, s18, v12
	v_add_co_u32_e32 v0, vcc, v14, v0
	v_addc_co_u32_e32 v1, vcc, v15, v1, vcc
	global_store_dwordx4 v[0:1], v[60:63], off
	v_lshlrev_b64 v[0:1], 4, v[12:13]
	v_add_u32_e32 v12, s18, v12
	v_add_co_u32_e32 v0, vcc, v14, v0
	v_addc_co_u32_e32 v1, vcc, v15, v1, vcc
	v_add_f64 v[8:9], v[34:35], v[42:43]
	global_store_dwordx4 v[0:1], v[36:39], off
	v_lshlrev_b64 v[0:1], 4, v[12:13]
	v_add_u32_e32 v12, s18, v12
	v_add_co_u32_e32 v0, vcc, v14, v0
	v_addc_co_u32_e32 v1, vcc, v15, v1, vcc
	global_store_dwordx4 v[0:1], v[48:51], off
	v_lshlrev_b64 v[0:1], 4, v[12:13]
	v_add_co_u32_e32 v0, vcc, v14, v0
	v_addc_co_u32_e32 v1, vcc, v15, v1, vcc
	global_store_dwordx4 v[0:1], v[8:11], off
.LBB0_17:
	s_endpgm
	.section	.rodata,"a",@progbits
	.p2align	6, 0x0
	.amdhsa_kernel fft_rtc_back_len17_factors_17_wgs_120_tpt_1_dp_op_CI_CI_sbrc_unaligned_dirReg
		.amdhsa_group_segment_fixed_size 0
		.amdhsa_private_segment_fixed_size 0
		.amdhsa_kernarg_size 104
		.amdhsa_user_sgpr_count 6
		.amdhsa_user_sgpr_private_segment_buffer 1
		.amdhsa_user_sgpr_dispatch_ptr 0
		.amdhsa_user_sgpr_queue_ptr 0
		.amdhsa_user_sgpr_kernarg_segment_ptr 1
		.amdhsa_user_sgpr_dispatch_id 0
		.amdhsa_user_sgpr_flat_scratch_init 0
		.amdhsa_user_sgpr_private_segment_size 0
		.amdhsa_uses_dynamic_stack 0
		.amdhsa_system_sgpr_private_segment_wavefront_offset 0
		.amdhsa_system_sgpr_workgroup_id_x 1
		.amdhsa_system_sgpr_workgroup_id_y 0
		.amdhsa_system_sgpr_workgroup_id_z 0
		.amdhsa_system_sgpr_workgroup_info 0
		.amdhsa_system_vgpr_workitem_id 0
		.amdhsa_next_free_vgpr 196
		.amdhsa_next_free_sgpr 58
		.amdhsa_reserve_vcc 1
		.amdhsa_reserve_flat_scratch 0
		.amdhsa_float_round_mode_32 0
		.amdhsa_float_round_mode_16_64 0
		.amdhsa_float_denorm_mode_32 3
		.amdhsa_float_denorm_mode_16_64 3
		.amdhsa_dx10_clamp 1
		.amdhsa_ieee_mode 1
		.amdhsa_fp16_overflow 0
		.amdhsa_exception_fp_ieee_invalid_op 0
		.amdhsa_exception_fp_denorm_src 0
		.amdhsa_exception_fp_ieee_div_zero 0
		.amdhsa_exception_fp_ieee_overflow 0
		.amdhsa_exception_fp_ieee_underflow 0
		.amdhsa_exception_fp_ieee_inexact 0
		.amdhsa_exception_int_div_zero 0
	.end_amdhsa_kernel
	.text
.Lfunc_end0:
	.size	fft_rtc_back_len17_factors_17_wgs_120_tpt_1_dp_op_CI_CI_sbrc_unaligned_dirReg, .Lfunc_end0-fft_rtc_back_len17_factors_17_wgs_120_tpt_1_dp_op_CI_CI_sbrc_unaligned_dirReg
                                        ; -- End function
	.section	.AMDGPU.csdata,"",@progbits
; Kernel info:
; codeLenInByte = 10360
; NumSgprs: 62
; NumVgprs: 196
; ScratchSize: 0
; MemoryBound: 0
; FloatMode: 240
; IeeeMode: 1
; LDSByteSize: 0 bytes/workgroup (compile time only)
; SGPRBlocks: 7
; VGPRBlocks: 48
; NumSGPRsForWavesPerEU: 62
; NumVGPRsForWavesPerEU: 196
; Occupancy: 1
; WaveLimiterHint : 1
; COMPUTE_PGM_RSRC2:SCRATCH_EN: 0
; COMPUTE_PGM_RSRC2:USER_SGPR: 6
; COMPUTE_PGM_RSRC2:TRAP_HANDLER: 0
; COMPUTE_PGM_RSRC2:TGID_X_EN: 1
; COMPUTE_PGM_RSRC2:TGID_Y_EN: 0
; COMPUTE_PGM_RSRC2:TGID_Z_EN: 0
; COMPUTE_PGM_RSRC2:TIDIG_COMP_CNT: 0
	.type	__hip_cuid_472fea06f26983ae,@object ; @__hip_cuid_472fea06f26983ae
	.section	.bss,"aw",@nobits
	.globl	__hip_cuid_472fea06f26983ae
__hip_cuid_472fea06f26983ae:
	.byte	0                               ; 0x0
	.size	__hip_cuid_472fea06f26983ae, 1

	.ident	"AMD clang version 19.0.0git (https://github.com/RadeonOpenCompute/llvm-project roc-6.4.0 25133 c7fe45cf4b819c5991fe208aaa96edf142730f1d)"
	.section	".note.GNU-stack","",@progbits
	.addrsig
	.addrsig_sym __hip_cuid_472fea06f26983ae
	.amdgpu_metadata
---
amdhsa.kernels:
  - .args:
      - .actual_access:  read_only
        .address_space:  global
        .offset:         0
        .size:           8
        .value_kind:     global_buffer
      - .offset:         8
        .size:           8
        .value_kind:     by_value
      - .actual_access:  read_only
        .address_space:  global
        .offset:         16
        .size:           8
        .value_kind:     global_buffer
      - .actual_access:  read_only
        .address_space:  global
        .offset:         24
        .size:           8
        .value_kind:     global_buffer
      - .actual_access:  read_only
        .address_space:  global
        .offset:         32
        .size:           8
        .value_kind:     global_buffer
      - .offset:         40
        .size:           8
        .value_kind:     by_value
      - .actual_access:  read_only
        .address_space:  global
        .offset:         48
        .size:           8
        .value_kind:     global_buffer
      - .actual_access:  read_only
        .address_space:  global
        .offset:         56
        .size:           8
        .value_kind:     global_buffer
      - .offset:         64
        .size:           4
        .value_kind:     by_value
      - .actual_access:  read_only
        .address_space:  global
        .offset:         72
        .size:           8
        .value_kind:     global_buffer
      - .actual_access:  read_only
        .address_space:  global
        .offset:         80
        .size:           8
        .value_kind:     global_buffer
      - .actual_access:  read_only
        .address_space:  global
        .offset:         88
        .size:           8
        .value_kind:     global_buffer
      - .actual_access:  write_only
        .address_space:  global
        .offset:         96
        .size:           8
        .value_kind:     global_buffer
    .group_segment_fixed_size: 0
    .kernarg_segment_align: 8
    .kernarg_segment_size: 104
    .language:       OpenCL C
    .language_version:
      - 2
      - 0
    .max_flat_workgroup_size: 120
    .name:           fft_rtc_back_len17_factors_17_wgs_120_tpt_1_dp_op_CI_CI_sbrc_unaligned_dirReg
    .private_segment_fixed_size: 0
    .sgpr_count:     62
    .sgpr_spill_count: 0
    .symbol:         fft_rtc_back_len17_factors_17_wgs_120_tpt_1_dp_op_CI_CI_sbrc_unaligned_dirReg.kd
    .uniform_work_group_size: 1
    .uses_dynamic_stack: false
    .vgpr_count:     196
    .vgpr_spill_count: 0
    .wavefront_size: 64
amdhsa.target:   amdgcn-amd-amdhsa--gfx906
amdhsa.version:
  - 1
  - 2
...

	.end_amdgpu_metadata
